;; amdgpu-corpus repo=ROCm/rocFFT kind=compiled arch=gfx1100 opt=O3
	.text
	.amdgcn_target "amdgcn-amd-amdhsa--gfx1100"
	.amdhsa_code_object_version 6
	.protected	fft_rtc_back_len1300_factors_10_10_13_wgs_130_tpt_130_dp_ip_CI_unitstride_sbrr_dirReg ; -- Begin function fft_rtc_back_len1300_factors_10_10_13_wgs_130_tpt_130_dp_ip_CI_unitstride_sbrr_dirReg
	.globl	fft_rtc_back_len1300_factors_10_10_13_wgs_130_tpt_130_dp_ip_CI_unitstride_sbrr_dirReg
	.p2align	8
	.type	fft_rtc_back_len1300_factors_10_10_13_wgs_130_tpt_130_dp_ip_CI_unitstride_sbrr_dirReg,@function
fft_rtc_back_len1300_factors_10_10_13_wgs_130_tpt_130_dp_ip_CI_unitstride_sbrr_dirReg: ; @fft_rtc_back_len1300_factors_10_10_13_wgs_130_tpt_130_dp_ip_CI_unitstride_sbrr_dirReg
; %bb.0:
	s_clause 0x2
	s_load_b128 s[4:7], s[0:1], 0x0
	s_load_b64 s[8:9], s[0:1], 0x50
	s_load_b64 s[10:11], s[0:1], 0x18
	v_mul_u32_u24_e32 v1, 0x1f9, v0
	v_mov_b32_e32 v3, 0
	v_mov_b32_e32 v4, 0
	s_delay_alu instid0(VALU_DEP_3) | instskip(SKIP_1) | instid1(VALU_DEP_1)
	v_lshrrev_b32_e32 v2, 16, v1
	v_mov_b32_e32 v1, 0
	v_dual_mov_b32 v6, v1 :: v_dual_add_nc_u32 v5, s15, v2
	s_waitcnt lgkmcnt(0)
	v_cmp_lt_u64_e64 s2, s[6:7], 2
	s_delay_alu instid0(VALU_DEP_1)
	s_and_b32 vcc_lo, exec_lo, s2
	s_cbranch_vccnz .LBB0_8
; %bb.1:
	s_load_b64 s[2:3], s[0:1], 0x10
	v_mov_b32_e32 v3, 0
	s_add_u32 s12, s10, 8
	v_mov_b32_e32 v4, 0
	s_addc_u32 s13, s11, 0
	s_mov_b64 s[16:17], 1
	s_waitcnt lgkmcnt(0)
	s_add_u32 s14, s2, 8
	s_addc_u32 s15, s3, 0
.LBB0_2:                                ; =>This Inner Loop Header: Depth=1
	s_load_b64 s[18:19], s[14:15], 0x0
                                        ; implicit-def: $vgpr7_vgpr8
	s_mov_b32 s2, exec_lo
	s_waitcnt lgkmcnt(0)
	v_or_b32_e32 v2, s19, v6
	s_delay_alu instid0(VALU_DEP_1)
	v_cmpx_ne_u64_e32 0, v[1:2]
	s_xor_b32 s3, exec_lo, s2
	s_cbranch_execz .LBB0_4
; %bb.3:                                ;   in Loop: Header=BB0_2 Depth=1
	v_cvt_f32_u32_e32 v2, s18
	v_cvt_f32_u32_e32 v7, s19
	s_sub_u32 s2, 0, s18
	s_subb_u32 s20, 0, s19
	s_delay_alu instid0(VALU_DEP_1) | instskip(NEXT) | instid1(VALU_DEP_1)
	v_fmac_f32_e32 v2, 0x4f800000, v7
	v_rcp_f32_e32 v2, v2
	s_waitcnt_depctr 0xfff
	v_mul_f32_e32 v2, 0x5f7ffffc, v2
	s_delay_alu instid0(VALU_DEP_1) | instskip(NEXT) | instid1(VALU_DEP_1)
	v_mul_f32_e32 v7, 0x2f800000, v2
	v_trunc_f32_e32 v7, v7
	s_delay_alu instid0(VALU_DEP_1) | instskip(SKIP_1) | instid1(VALU_DEP_2)
	v_fmac_f32_e32 v2, 0xcf800000, v7
	v_cvt_u32_f32_e32 v7, v7
	v_cvt_u32_f32_e32 v2, v2
	s_delay_alu instid0(VALU_DEP_2) | instskip(NEXT) | instid1(VALU_DEP_2)
	v_mul_lo_u32 v8, s2, v7
	v_mul_hi_u32 v9, s2, v2
	v_mul_lo_u32 v10, s20, v2
	s_delay_alu instid0(VALU_DEP_2) | instskip(SKIP_1) | instid1(VALU_DEP_2)
	v_add_nc_u32_e32 v8, v9, v8
	v_mul_lo_u32 v9, s2, v2
	v_add_nc_u32_e32 v8, v8, v10
	s_delay_alu instid0(VALU_DEP_2) | instskip(NEXT) | instid1(VALU_DEP_2)
	v_mul_hi_u32 v10, v2, v9
	v_mul_lo_u32 v11, v2, v8
	v_mul_hi_u32 v12, v2, v8
	v_mul_hi_u32 v13, v7, v9
	v_mul_lo_u32 v9, v7, v9
	v_mul_hi_u32 v14, v7, v8
	v_mul_lo_u32 v8, v7, v8
	v_add_co_u32 v10, vcc_lo, v10, v11
	v_add_co_ci_u32_e32 v11, vcc_lo, 0, v12, vcc_lo
	s_delay_alu instid0(VALU_DEP_2) | instskip(NEXT) | instid1(VALU_DEP_2)
	v_add_co_u32 v9, vcc_lo, v10, v9
	v_add_co_ci_u32_e32 v9, vcc_lo, v11, v13, vcc_lo
	v_add_co_ci_u32_e32 v10, vcc_lo, 0, v14, vcc_lo
	s_delay_alu instid0(VALU_DEP_2) | instskip(NEXT) | instid1(VALU_DEP_2)
	v_add_co_u32 v8, vcc_lo, v9, v8
	v_add_co_ci_u32_e32 v9, vcc_lo, 0, v10, vcc_lo
	s_delay_alu instid0(VALU_DEP_2) | instskip(NEXT) | instid1(VALU_DEP_2)
	v_add_co_u32 v2, vcc_lo, v2, v8
	v_add_co_ci_u32_e32 v7, vcc_lo, v7, v9, vcc_lo
	s_delay_alu instid0(VALU_DEP_2) | instskip(SKIP_1) | instid1(VALU_DEP_3)
	v_mul_hi_u32 v8, s2, v2
	v_mul_lo_u32 v10, s20, v2
	v_mul_lo_u32 v9, s2, v7
	s_delay_alu instid0(VALU_DEP_1) | instskip(SKIP_1) | instid1(VALU_DEP_2)
	v_add_nc_u32_e32 v8, v8, v9
	v_mul_lo_u32 v9, s2, v2
	v_add_nc_u32_e32 v8, v8, v10
	s_delay_alu instid0(VALU_DEP_2) | instskip(NEXT) | instid1(VALU_DEP_2)
	v_mul_hi_u32 v10, v2, v9
	v_mul_lo_u32 v11, v2, v8
	v_mul_hi_u32 v12, v2, v8
	v_mul_hi_u32 v13, v7, v9
	v_mul_lo_u32 v9, v7, v9
	v_mul_hi_u32 v14, v7, v8
	v_mul_lo_u32 v8, v7, v8
	v_add_co_u32 v10, vcc_lo, v10, v11
	v_add_co_ci_u32_e32 v11, vcc_lo, 0, v12, vcc_lo
	s_delay_alu instid0(VALU_DEP_2) | instskip(NEXT) | instid1(VALU_DEP_2)
	v_add_co_u32 v9, vcc_lo, v10, v9
	v_add_co_ci_u32_e32 v9, vcc_lo, v11, v13, vcc_lo
	v_add_co_ci_u32_e32 v10, vcc_lo, 0, v14, vcc_lo
	s_delay_alu instid0(VALU_DEP_2) | instskip(NEXT) | instid1(VALU_DEP_2)
	v_add_co_u32 v8, vcc_lo, v9, v8
	v_add_co_ci_u32_e32 v9, vcc_lo, 0, v10, vcc_lo
	s_delay_alu instid0(VALU_DEP_2) | instskip(NEXT) | instid1(VALU_DEP_2)
	v_add_co_u32 v2, vcc_lo, v2, v8
	v_add_co_ci_u32_e32 v13, vcc_lo, v7, v9, vcc_lo
	s_delay_alu instid0(VALU_DEP_2) | instskip(SKIP_1) | instid1(VALU_DEP_3)
	v_mul_hi_u32 v14, v5, v2
	v_mad_u64_u32 v[9:10], null, v6, v2, 0
	v_mad_u64_u32 v[7:8], null, v5, v13, 0
	;; [unrolled: 1-line block ×3, first 2 shown]
	s_delay_alu instid0(VALU_DEP_2) | instskip(NEXT) | instid1(VALU_DEP_3)
	v_add_co_u32 v2, vcc_lo, v14, v7
	v_add_co_ci_u32_e32 v7, vcc_lo, 0, v8, vcc_lo
	s_delay_alu instid0(VALU_DEP_2) | instskip(NEXT) | instid1(VALU_DEP_2)
	v_add_co_u32 v2, vcc_lo, v2, v9
	v_add_co_ci_u32_e32 v2, vcc_lo, v7, v10, vcc_lo
	v_add_co_ci_u32_e32 v7, vcc_lo, 0, v12, vcc_lo
	s_delay_alu instid0(VALU_DEP_2) | instskip(NEXT) | instid1(VALU_DEP_2)
	v_add_co_u32 v2, vcc_lo, v2, v11
	v_add_co_ci_u32_e32 v9, vcc_lo, 0, v7, vcc_lo
	s_delay_alu instid0(VALU_DEP_2) | instskip(SKIP_1) | instid1(VALU_DEP_3)
	v_mul_lo_u32 v10, s19, v2
	v_mad_u64_u32 v[7:8], null, s18, v2, 0
	v_mul_lo_u32 v11, s18, v9
	s_delay_alu instid0(VALU_DEP_2) | instskip(NEXT) | instid1(VALU_DEP_2)
	v_sub_co_u32 v7, vcc_lo, v5, v7
	v_add3_u32 v8, v8, v11, v10
	s_delay_alu instid0(VALU_DEP_1) | instskip(NEXT) | instid1(VALU_DEP_1)
	v_sub_nc_u32_e32 v10, v6, v8
	v_subrev_co_ci_u32_e64 v10, s2, s19, v10, vcc_lo
	v_add_co_u32 v11, s2, v2, 2
	s_delay_alu instid0(VALU_DEP_1) | instskip(SKIP_3) | instid1(VALU_DEP_3)
	v_add_co_ci_u32_e64 v12, s2, 0, v9, s2
	v_sub_co_u32 v13, s2, v7, s18
	v_sub_co_ci_u32_e32 v8, vcc_lo, v6, v8, vcc_lo
	v_subrev_co_ci_u32_e64 v10, s2, 0, v10, s2
	v_cmp_le_u32_e32 vcc_lo, s18, v13
	s_delay_alu instid0(VALU_DEP_3) | instskip(SKIP_1) | instid1(VALU_DEP_4)
	v_cmp_eq_u32_e64 s2, s19, v8
	v_cndmask_b32_e64 v13, 0, -1, vcc_lo
	v_cmp_le_u32_e32 vcc_lo, s19, v10
	v_cndmask_b32_e64 v14, 0, -1, vcc_lo
	v_cmp_le_u32_e32 vcc_lo, s18, v7
	;; [unrolled: 2-line block ×3, first 2 shown]
	v_cndmask_b32_e64 v15, 0, -1, vcc_lo
	v_cmp_eq_u32_e32 vcc_lo, s19, v10
	s_delay_alu instid0(VALU_DEP_2) | instskip(SKIP_3) | instid1(VALU_DEP_3)
	v_cndmask_b32_e64 v7, v15, v7, s2
	v_cndmask_b32_e32 v10, v14, v13, vcc_lo
	v_add_co_u32 v13, vcc_lo, v2, 1
	v_add_co_ci_u32_e32 v14, vcc_lo, 0, v9, vcc_lo
	v_cmp_ne_u32_e32 vcc_lo, 0, v10
	s_delay_alu instid0(VALU_DEP_2) | instskip(NEXT) | instid1(VALU_DEP_4)
	v_cndmask_b32_e32 v8, v14, v12, vcc_lo
	v_cndmask_b32_e32 v10, v13, v11, vcc_lo
	v_cmp_ne_u32_e32 vcc_lo, 0, v7
	s_delay_alu instid0(VALU_DEP_2)
	v_dual_cndmask_b32 v7, v2, v10 :: v_dual_cndmask_b32 v8, v9, v8
.LBB0_4:                                ;   in Loop: Header=BB0_2 Depth=1
	s_and_not1_saveexec_b32 s2, s3
	s_cbranch_execz .LBB0_6
; %bb.5:                                ;   in Loop: Header=BB0_2 Depth=1
	v_cvt_f32_u32_e32 v2, s18
	s_sub_i32 s3, 0, s18
	s_delay_alu instid0(VALU_DEP_1) | instskip(SKIP_2) | instid1(VALU_DEP_1)
	v_rcp_iflag_f32_e32 v2, v2
	s_waitcnt_depctr 0xfff
	v_mul_f32_e32 v2, 0x4f7ffffe, v2
	v_cvt_u32_f32_e32 v2, v2
	s_delay_alu instid0(VALU_DEP_1) | instskip(NEXT) | instid1(VALU_DEP_1)
	v_mul_lo_u32 v7, s3, v2
	v_mul_hi_u32 v7, v2, v7
	s_delay_alu instid0(VALU_DEP_1) | instskip(NEXT) | instid1(VALU_DEP_1)
	v_add_nc_u32_e32 v2, v2, v7
	v_mul_hi_u32 v2, v5, v2
	s_delay_alu instid0(VALU_DEP_1) | instskip(SKIP_1) | instid1(VALU_DEP_2)
	v_mul_lo_u32 v7, v2, s18
	v_add_nc_u32_e32 v8, 1, v2
	v_sub_nc_u32_e32 v7, v5, v7
	s_delay_alu instid0(VALU_DEP_1) | instskip(SKIP_1) | instid1(VALU_DEP_2)
	v_subrev_nc_u32_e32 v9, s18, v7
	v_cmp_le_u32_e32 vcc_lo, s18, v7
	v_dual_cndmask_b32 v7, v7, v9 :: v_dual_cndmask_b32 v2, v2, v8
	s_delay_alu instid0(VALU_DEP_1) | instskip(NEXT) | instid1(VALU_DEP_2)
	v_cmp_le_u32_e32 vcc_lo, s18, v7
	v_add_nc_u32_e32 v8, 1, v2
	s_delay_alu instid0(VALU_DEP_1)
	v_dual_cndmask_b32 v7, v2, v8 :: v_dual_mov_b32 v8, v1
.LBB0_6:                                ;   in Loop: Header=BB0_2 Depth=1
	s_or_b32 exec_lo, exec_lo, s2
	s_load_b64 s[2:3], s[12:13], 0x0
	s_delay_alu instid0(VALU_DEP_1) | instskip(NEXT) | instid1(VALU_DEP_2)
	v_mul_lo_u32 v2, v8, s18
	v_mul_lo_u32 v11, v7, s19
	v_mad_u64_u32 v[9:10], null, v7, s18, 0
	s_add_u32 s16, s16, 1
	s_addc_u32 s17, s17, 0
	s_add_u32 s12, s12, 8
	s_addc_u32 s13, s13, 0
	;; [unrolled: 2-line block ×3, first 2 shown]
	s_delay_alu instid0(VALU_DEP_1) | instskip(SKIP_1) | instid1(VALU_DEP_2)
	v_add3_u32 v2, v10, v11, v2
	v_sub_co_u32 v9, vcc_lo, v5, v9
	v_sub_co_ci_u32_e32 v2, vcc_lo, v6, v2, vcc_lo
	s_waitcnt lgkmcnt(0)
	s_delay_alu instid0(VALU_DEP_2) | instskip(NEXT) | instid1(VALU_DEP_2)
	v_mul_lo_u32 v10, s3, v9
	v_mul_lo_u32 v2, s2, v2
	v_mad_u64_u32 v[5:6], null, s2, v9, v[3:4]
	v_cmp_ge_u64_e64 s2, s[16:17], s[6:7]
	s_delay_alu instid0(VALU_DEP_1) | instskip(NEXT) | instid1(VALU_DEP_2)
	s_and_b32 vcc_lo, exec_lo, s2
	v_add3_u32 v4, v10, v6, v2
	s_delay_alu instid0(VALU_DEP_3)
	v_mov_b32_e32 v3, v5
	s_cbranch_vccnz .LBB0_9
; %bb.7:                                ;   in Loop: Header=BB0_2 Depth=1
	v_dual_mov_b32 v5, v7 :: v_dual_mov_b32 v6, v8
	s_branch .LBB0_2
.LBB0_8:
	v_dual_mov_b32 v8, v6 :: v_dual_mov_b32 v7, v5
.LBB0_9:
	s_lshl_b64 s[2:3], s[6:7], 3
                                        ; implicit-def: $vgpr14_vgpr15
                                        ; implicit-def: $vgpr18_vgpr19
                                        ; implicit-def: $vgpr30_vgpr31
                                        ; implicit-def: $vgpr34_vgpr35
                                        ; implicit-def: $vgpr38_vgpr39
                                        ; implicit-def: $vgpr26_vgpr27
                                        ; implicit-def: $vgpr22_vgpr23
                                        ; implicit-def: $vgpr10_vgpr11
	s_delay_alu instid0(SALU_CYCLE_1)
	s_add_u32 s2, s10, s2
	s_addc_u32 s3, s11, s3
	s_load_b64 s[2:3], s[2:3], 0x0
	s_load_b64 s[0:1], s[0:1], 0x20
	s_waitcnt lgkmcnt(0)
	v_mul_lo_u32 v5, s2, v8
	v_mul_lo_u32 v6, s3, v7
	v_mad_u64_u32 v[1:2], null, s2, v7, v[3:4]
	v_mul_hi_u32 v3, 0x1f81f82, v0
	v_cmp_gt_u64_e32 vcc_lo, s[0:1], v[7:8]
	s_delay_alu instid0(VALU_DEP_3) | instskip(NEXT) | instid1(VALU_DEP_3)
	v_add3_u32 v2, v6, v2, v5
                                        ; implicit-def: $vgpr6_vgpr7
	v_mul_u32_u24_e32 v3, 0x82, v3
	s_delay_alu instid0(VALU_DEP_2) | instskip(NEXT) | instid1(VALU_DEP_2)
	v_lshlrev_b64 v[54:55], 4, v[1:2]
	v_sub_nc_u32_e32 v52, v0, v3
                                        ; implicit-def: $vgpr2_vgpr3
	s_and_saveexec_b32 s1, vcc_lo
	s_cbranch_execz .LBB0_11
; %bb.10:
	v_mov_b32_e32 v53, 0
	s_delay_alu instid0(VALU_DEP_3) | instskip(NEXT) | instid1(VALU_DEP_1)
	v_add_co_u32 v2, s0, s8, v54
	v_add_co_ci_u32_e64 v3, s0, s9, v55, s0
	s_delay_alu instid0(VALU_DEP_3) | instskip(NEXT) | instid1(VALU_DEP_1)
	v_lshlrev_b64 v[0:1], 4, v[52:53]
	v_add_co_u32 v0, s0, v2, v0
	s_delay_alu instid0(VALU_DEP_1) | instskip(SKIP_4) | instid1(VALU_DEP_1)
	v_add_co_ci_u32_e64 v1, s0, v3, v1, s0
	s_clause 0x1
	global_load_b128 v[8:11], v[0:1], off
	global_load_b128 v[20:23], v[0:1], off offset:2080
	v_add_co_u32 v2, s0, 0x1000, v0
	v_add_co_ci_u32_e64 v3, s0, 0, v1, s0
	v_add_co_u32 v4, s0, 0x2000, v0
	s_delay_alu instid0(VALU_DEP_1) | instskip(SKIP_4) | instid1(VALU_DEP_1)
	v_add_co_ci_u32_e64 v5, s0, 0, v1, s0
	s_clause 0x1
	global_load_b128 v[24:27], v[2:3], off offset:64
	global_load_b128 v[36:39], v[2:3], off offset:2144
	v_add_co_u32 v2, s0, 0x3000, v0
	v_add_co_ci_u32_e64 v3, s0, 0, v1, s0
	v_add_co_u32 v6, s0, 0x4000, v0
	s_delay_alu instid0(VALU_DEP_1)
	v_add_co_ci_u32_e64 v7, s0, 0, v1, s0
	s_clause 0x5
	global_load_b128 v[32:35], v[4:5], off offset:128
	global_load_b128 v[28:31], v[4:5], off offset:2208
	;; [unrolled: 1-line block ×6, first 2 shown]
.LBB0_11:
	s_or_b32 exec_lo, exec_lo, s1
	s_waitcnt vmcnt(2)
	v_add_f64 v[40:41], v[14:15], v[30:31]
	s_waitcnt vmcnt(0)
	v_add_f64 v[42:43], v[6:7], v[38:39]
	v_add_f64 v[44:45], v[12:13], v[28:29]
	;; [unrolled: 1-line block ×3, first 2 shown]
	v_add_f64 v[48:49], v[36:37], -v[4:5]
	v_add_f64 v[50:51], v[28:29], -v[12:13]
	;; [unrolled: 1-line block ×4, first 2 shown]
	s_mov_b32 s6, 0x134454ff
	s_mov_b32 s7, 0xbfee6f0e
	;; [unrolled: 1-line block ×4, first 2 shown]
	v_add_f64 v[60:61], v[16:17], v[32:33]
	v_add_f64 v[62:63], v[0:1], v[24:25]
	;; [unrolled: 1-line block ×4, first 2 shown]
	v_add_f64 v[68:69], v[36:37], -v[28:29]
	v_add_f64 v[70:71], v[4:5], -v[12:13]
	;; [unrolled: 1-line block ×8, first 2 shown]
	s_mov_b32 s10, 0x4755a5e
	s_mov_b32 s11, 0xbfe2cf23
	;; [unrolled: 1-line block ×4, first 2 shown]
	v_add_f64 v[92:93], v[26:27], v[10:11]
	v_add_f64 v[94:95], v[34:35], -v[18:19]
	v_add_f64 v[96:97], v[24:25], -v[0:1]
	;; [unrolled: 1-line block ×3, first 2 shown]
	s_mov_b32 s12, 0x372fe950
	s_mov_b32 s13, 0x3fd3c6ef
	;; [unrolled: 1-line block ×6, first 2 shown]
	v_fma_f64 v[40:41], v[40:41], -0.5, v[22:23]
	v_fma_f64 v[42:43], v[42:43], -0.5, v[22:23]
	v_fma_f64 v[44:45], v[44:45], -0.5, v[20:21]
	v_fma_f64 v[46:47], v[46:47], -0.5, v[20:21]
	v_add_f64 v[20:21], v[36:37], v[20:21]
	v_add_f64 v[22:23], v[38:39], v[22:23]
	;; [unrolled: 1-line block ×3, first 2 shown]
	v_add_f64 v[38:39], v[26:27], -v[2:3]
	s_mov_b32 s19, 0xbfe9e377
	s_mov_b32 s18, s14
	v_fma_f64 v[60:61], v[60:61], -0.5, v[8:9]
	v_fma_f64 v[8:9], v[62:63], -0.5, v[8:9]
	;; [unrolled: 1-line block ×4, first 2 shown]
	v_add_f64 v[64:65], v[70:71], v[68:69]
	v_add_f64 v[66:67], v[74:75], v[72:73]
	;; [unrolled: 1-line block ×3, first 2 shown]
	v_add_f64 v[76:77], v[24:25], -v[32:33]
	v_add_f64 v[70:71], v[82:83], v[80:81]
	v_add_f64 v[24:25], v[32:33], -v[24:25]
	v_add_f64 v[82:83], v[26:27], -v[34:35]
	;; [unrolled: 1-line block ×4, first 2 shown]
	v_add_f64 v[34:35], v[34:35], v[92:93]
	v_add_f64 v[80:81], v[16:17], -v[0:1]
	v_fma_f64 v[84:85], v[48:49], s[0:1], v[40:41]
	v_fma_f64 v[86:87], v[50:51], s[6:7], v[42:43]
	;; [unrolled: 1-line block ×8, first 2 shown]
	v_add_f64 v[32:33], v[32:33], v[36:37]
	v_add_f64 v[20:21], v[28:29], v[20:21]
	;; [unrolled: 1-line block ×3, first 2 shown]
	v_fma_f64 v[28:29], v[38:39], s[6:7], v[60:61]
	v_fma_f64 v[30:31], v[38:39], s[0:1], v[60:61]
	;; [unrolled: 1-line block ×6, first 2 shown]
	v_add_f64 v[24:25], v[80:81], v[24:25]
	v_fma_f64 v[72:73], v[50:51], s[2:3], v[84:85]
	v_fma_f64 v[74:75], v[48:49], s[2:3], v[86:87]
	;; [unrolled: 1-line block ×6, first 2 shown]
	v_add_f64 v[84:85], v[2:3], -v[18:19]
	v_add_f64 v[86:87], v[18:19], -v[2:3]
	v_fma_f64 v[88:89], v[98:99], s[6:7], v[10:11]
	v_fma_f64 v[10:11], v[98:99], s[0:1], v[10:11]
	;; [unrolled: 1-line block ×4, first 2 shown]
	v_add_f64 v[16:17], v[16:17], v[32:33]
	v_add_f64 v[18:19], v[18:19], v[34:35]
	;; [unrolled: 1-line block ×4, first 2 shown]
	v_fma_f64 v[20:21], v[94:95], s[10:11], v[28:29]
	v_fma_f64 v[22:23], v[94:95], s[2:3], v[30:31]
	;; [unrolled: 1-line block ×12, first 2 shown]
	v_add_f64 v[68:69], v[78:79], v[76:77]
	v_add_f64 v[70:71], v[84:85], v[82:83]
	;; [unrolled: 1-line block ×3, first 2 shown]
	v_fma_f64 v[34:35], v[96:97], s[2:3], v[88:89]
	v_fma_f64 v[10:11], v[96:97], s[10:11], v[10:11]
	;; [unrolled: 1-line block ×4, first 2 shown]
	v_add_f64 v[16:17], v[0:1], v[16:17]
	v_add_f64 v[18:19], v[2:3], v[18:19]
	v_add_f64 v[4:5], v[4:5], v[12:13]
	v_add_f64 v[6:7], v[6:7], v[14:15]
	v_and_b32_e32 v0, 0xff, v52
	v_fma_f64 v[28:29], v[24:25], s[12:13], v[28:29]
	v_fma_f64 v[74:75], v[24:25], s[12:13], v[8:9]
	v_mul_f64 v[44:45], v[56:57], s[10:11]
	v_mul_f64 v[46:47], v[58:59], s[6:7]
	;; [unrolled: 1-line block ×8, first 2 shown]
	v_fma_f64 v[72:73], v[68:69], s[12:13], v[20:21]
	v_fma_f64 v[30:31], v[70:71], s[12:13], v[30:31]
	;; [unrolled: 1-line block ×6, first 2 shown]
	v_add_f64 v[2:3], v[6:7], v[18:19]
	v_add_f64 v[6:7], v[18:19], -v[6:7]
	v_fma_f64 v[24:25], v[48:49], s[14:15], v[44:45]
	v_fma_f64 v[26:27], v[50:51], s[12:13], v[46:47]
	;; [unrolled: 1-line block ×8, first 2 shown]
	v_mul_lo_u16 v38, 0xcd, v0
	v_add_f64 v[0:1], v[4:5], v[16:17]
	v_add_f64 v[4:5], v[16:17], -v[4:5]
	v_add_f64 v[8:9], v[72:73], v[24:25]
	v_add_f64 v[12:13], v[28:29], v[26:27]
	;; [unrolled: 1-line block ×8, first 2 shown]
	v_add_f64 v[24:25], v[72:73], -v[24:25]
	v_add_f64 v[28:29], v[28:29], -v[26:27]
	;; [unrolled: 1-line block ×7, first 2 shown]
	v_lshrrev_b16 v37, 11, v38
	v_add_f64 v[39:40], v[68:69], -v[44:45]
	s_delay_alu instid0(VALU_DEP_2) | instskip(SKIP_1) | instid1(VALU_DEP_2)
	v_mul_lo_u16 v36, v37, 10
	v_and_b32_e32 v37, 0xffff, v37
	v_sub_nc_u16 v36, v52, v36
	s_delay_alu instid0(VALU_DEP_2) | instskip(NEXT) | instid1(VALU_DEP_2)
	v_mul_u32_u24_e32 v37, 0x640, v37
	v_and_b32_e32 v38, 0xff, v36
	v_mul_u32_u24_e32 v36, 10, v52
	s_delay_alu instid0(VALU_DEP_2) | instskip(NEXT) | instid1(VALU_DEP_2)
	v_mul_u32_u24_e32 v43, 9, v38
	v_lshl_add_u32 v36, v36, 4, 0
	ds_store_b128 v36, v[0:3]
	ds_store_b128 v36, v[8:11] offset:16
	ds_store_b128 v36, v[12:15] offset:32
	;; [unrolled: 1-line block ×9, first 2 shown]
	v_lshlrev_b32_e32 v43, 4, v43
	s_waitcnt lgkmcnt(0)
	s_barrier
	buffer_gl0_inv
	s_clause 0x8
	global_load_b128 v[0:3], v43, s[4:5] offset:32
	global_load_b128 v[4:7], v43, s[4:5] offset:64
	;; [unrolled: 1-line block ×4, first 2 shown]
	global_load_b128 v[16:19], v43, s[4:5]
	global_load_b128 v[20:23], v43, s[4:5] offset:16
	global_load_b128 v[24:27], v43, s[4:5] offset:48
	;; [unrolled: 1-line block ×4, first 2 shown]
	v_mad_i32_i24 v51, 0xffffff70, v52, v36
	ds_load_b128 v[39:42], v51 offset:6240
	ds_load_b128 v[43:46], v51 offset:10400
	;; [unrolled: 1-line block ×9, first 2 shown]
	ds_load_b128 v[80:83], v51
	v_lshlrev_b32_e32 v38, 4, v38
	s_waitcnt vmcnt(0) lgkmcnt(0)
	s_barrier
	buffer_gl0_inv
	v_add3_u32 v37, 0, v37, v38
	v_mul_f64 v[84:85], v[39:40], v[2:3]
	v_mul_f64 v[86:87], v[43:44], v[6:7]
	;; [unrolled: 1-line block ×10, first 2 shown]
	v_fma_f64 v[41:42], v[41:42], v[0:1], -v[84:85]
	v_fma_f64 v[45:46], v[45:46], v[4:5], -v[86:87]
	;; [unrolled: 1-line block ×4, first 2 shown]
	v_mul_f64 v[84:85], v[62:63], v[22:23]
	v_mul_f64 v[22:23], v[60:61], v[22:23]
	;; [unrolled: 1-line block ×8, first 2 shown]
	v_fma_f64 v[0:1], v[39:40], v[0:1], v[2:3]
	v_fma_f64 v[2:3], v[43:44], v[4:5], v[6:7]
	;; [unrolled: 1-line block ×4, first 2 shown]
	v_fma_f64 v[8:9], v[78:79], v[16:17], -v[92:93]
	v_fma_f64 v[16:17], v[76:77], v[16:17], v[18:19]
	v_add_f64 v[10:11], v[45:46], v[49:50]
	v_add_f64 v[12:13], v[41:42], v[58:59]
	v_fma_f64 v[14:15], v[60:61], v[20:21], v[84:85]
	v_fma_f64 v[20:21], v[62:63], v[20:21], -v[22:23]
	v_fma_f64 v[22:23], v[64:65], v[24:25], v[86:87]
	v_fma_f64 v[24:25], v[66:67], v[24:25], -v[26:27]
	v_fma_f64 v[26:27], v[68:69], v[28:29], v[88:89]
	v_fma_f64 v[39:40], v[72:73], v[32:33], v[90:91]
	v_fma_f64 v[28:29], v[70:71], v[28:29], -v[30:31]
	v_fma_f64 v[30:31], v[74:75], v[32:33], -v[34:35]
	v_add_f64 v[64:65], v[41:42], -v[58:59]
	v_add_f64 v[66:67], v[41:42], -v[45:46]
	v_add_f64 v[18:19], v[2:3], v[4:5]
	v_add_f64 v[32:33], v[0:1], v[6:7]
	v_add_f64 v[34:35], v[2:3], -v[4:5]
	v_add_f64 v[43:44], v[0:1], -v[6:7]
	;; [unrolled: 1-line block ×8, first 2 shown]
	v_fma_f64 v[10:11], v[10:11], -0.5, v[8:9]
	v_fma_f64 v[12:13], v[12:13], -0.5, v[8:9]
	v_add_f64 v[84:85], v[80:81], v[14:15]
	v_add_f64 v[88:89], v[82:83], v[20:21]
	;; [unrolled: 1-line block ×3, first 2 shown]
	v_add_f64 v[41:42], v[4:5], -v[6:7]
	v_add_f64 v[47:48], v[22:23], v[26:27]
	v_add_f64 v[56:57], v[14:15], v[39:40]
	;; [unrolled: 1-line block ×4, first 2 shown]
	v_add_f64 v[86:87], v[20:21], -v[30:31]
	v_add_f64 v[94:95], v[24:25], -v[28:29]
	v_fma_f64 v[18:19], v[18:19], -0.5, v[16:17]
	v_fma_f64 v[32:33], v[32:33], -0.5, v[16:17]
	v_add_f64 v[16:17], v[16:17], v[0:1]
	v_add_f64 v[0:1], v[2:3], -v[0:1]
	v_add_f64 v[96:97], v[14:15], -v[39:40]
	v_add_f64 v[66:67], v[66:67], v[68:69]
	v_add_f64 v[68:69], v[70:71], v[72:73]
	v_add_f64 v[98:99], v[26:27], -v[39:40]
	v_add_f64 v[100:101], v[30:31], -v[28:29]
	;; [unrolled: 1-line block ×3, first 2 shown]
	v_fma_f64 v[76:77], v[43:44], s[0:1], v[10:11]
	v_fma_f64 v[78:79], v[34:35], s[6:7], v[12:13]
	;; [unrolled: 1-line block ×4, first 2 shown]
	v_add_f64 v[8:9], v[8:9], v[45:46]
	v_fma_f64 v[47:48], v[47:48], -0.5, v[80:81]
	v_fma_f64 v[56:57], v[56:57], -0.5, v[80:81]
	v_add_f64 v[80:81], v[22:23], -v[26:27]
	v_fma_f64 v[60:61], v[60:61], -0.5, v[82:83]
	v_fma_f64 v[62:63], v[62:63], -0.5, v[82:83]
	v_add_f64 v[82:83], v[39:40], -v[26:27]
	v_fma_f64 v[70:71], v[64:65], s[6:7], v[18:19]
	v_fma_f64 v[18:19], v[64:65], s[0:1], v[18:19]
	;; [unrolled: 1-line block ×4, first 2 shown]
	v_add_f64 v[2:3], v[16:17], v[2:3]
	v_add_f64 v[16:17], v[90:91], v[92:93]
	;; [unrolled: 1-line block ×3, first 2 shown]
	v_fma_f64 v[76:77], v[34:35], s[2:3], v[76:77]
	v_fma_f64 v[78:79], v[43:44], s[2:3], v[78:79]
	;; [unrolled: 1-line block ×4, first 2 shown]
	v_add_f64 v[34:35], v[14:15], -v[22:23]
	v_add_f64 v[14:15], v[22:23], -v[14:15]
	;; [unrolled: 1-line block ×4, first 2 shown]
	v_add_f64 v[22:23], v[84:85], v[22:23]
	v_add_f64 v[24:25], v[88:89], v[24:25]
	v_fma_f64 v[41:42], v[86:87], s[6:7], v[47:48]
	v_fma_f64 v[45:46], v[86:87], s[0:1], v[47:48]
	;; [unrolled: 1-line block ×12, first 2 shown]
	v_add_f64 v[2:3], v[2:3], v[4:5]
	v_add_f64 v[4:5], v[8:9], v[49:50]
	v_fma_f64 v[64:65], v[66:67], s[12:13], v[76:77]
	v_fma_f64 v[74:75], v[68:69], s[12:13], v[78:79]
	;; [unrolled: 1-line block ×4, first 2 shown]
	v_add_f64 v[34:35], v[34:35], v[82:83]
	v_add_f64 v[14:15], v[14:15], v[98:99]
	;; [unrolled: 1-line block ×6, first 2 shown]
	v_fma_f64 v[8:9], v[94:95], s[10:11], v[41:42]
	v_fma_f64 v[26:27], v[94:95], s[2:3], v[45:46]
	;; [unrolled: 1-line block ×12, first 2 shown]
	v_add_f64 v[6:7], v[2:3], v[6:7]
	v_add_f64 v[4:5], v[4:5], v[58:59]
	v_mul_f64 v[32:33], v[64:65], s[10:11]
	v_mul_f64 v[62:63], v[74:75], s[6:7]
	;; [unrolled: 1-line block ×8, first 2 shown]
	v_add_f64 v[22:23], v[22:23], v[39:40]
	v_add_f64 v[24:25], v[24:25], v[30:31]
	v_fma_f64 v[30:31], v[34:35], s[12:13], v[8:9]
	v_fma_f64 v[26:27], v[34:35], s[12:13], v[26:27]
	v_fma_f64 v[28:29], v[14:15], s[12:13], v[28:29]
	v_fma_f64 v[39:40], v[14:15], s[12:13], v[41:42]
	v_fma_f64 v[41:42], v[43:44], s[12:13], v[45:46]
	v_fma_f64 v[58:59], v[43:44], s[12:13], v[47:48]
	v_fma_f64 v[48:49], v[20:21], s[12:13], v[49:50]
	v_fma_f64 v[50:51], v[20:21], s[12:13], v[56:57]
	v_fma_f64 v[20:21], v[60:61], s[14:15], v[32:33]
	v_fma_f64 v[56:57], v[18:19], s[12:13], v[62:63]
	v_fma_f64 v[62:63], v[0:1], s[16:17], v[66:67]
	v_fma_f64 v[66:67], v[16:17], s[18:19], v[68:69]
	v_fma_f64 v[60:61], v[60:61], s[2:3], v[64:65]
	v_fma_f64 v[64:65], v[18:19], s[0:1], v[70:71]
	v_fma_f64 v[68:69], v[0:1], s[0:1], v[12:13]
	v_fma_f64 v[70:71], v[16:17], s[2:3], v[10:11]
	v_add_f64 v[0:1], v[22:23], v[6:7]
	v_add_f64 v[2:3], v[24:25], v[4:5]
	v_add_f64 v[44:45], v[22:23], -v[6:7]
	v_add_f64 v[46:47], v[24:25], -v[4:5]
	v_cmp_gt_u32_e64 s0, 0x64, v52
	v_add_f64 v[4:5], v[30:31], v[20:21]
	v_add_f64 v[32:33], v[28:29], v[56:57]
	;; [unrolled: 1-line block ×8, first 2 shown]
	v_add_f64 v[16:17], v[30:31], -v[20:21]
	v_add_f64 v[20:21], v[28:29], -v[56:57]
	;; [unrolled: 1-line block ×8, first 2 shown]
                                        ; implicit-def: $vgpr42_vgpr43
                                        ; implicit-def: $vgpr50_vgpr51
                                        ; implicit-def: $vgpr38_vgpr39
	ds_store_b128 v37, v[0:3]
	ds_store_b128 v37, v[4:7] offset:160
	ds_store_b128 v37, v[32:35] offset:320
	;; [unrolled: 1-line block ×9, first 2 shown]
	s_waitcnt lgkmcnt(0)
	s_barrier
	buffer_gl0_inv
	s_and_saveexec_b32 s1, s0
	s_cbranch_execnz .LBB0_14
; %bb.12:
	s_or_b32 exec_lo, exec_lo, s1
	s_and_b32 s0, vcc_lo, s0
	s_delay_alu instid0(SALU_CYCLE_1)
	s_and_saveexec_b32 s1, s0
	s_cbranch_execnz .LBB0_15
.LBB0_13:
	s_endpgm
.LBB0_14:
	v_mul_i32_i24_e32 v0, 0xffffff70, v52
	s_delay_alu instid0(VALU_DEP_1)
	v_add_nc_u32_e32 v40, v36, v0
	ds_load_b128 v[0:3], v40
	ds_load_b128 v[4:7], v40 offset:1600
	ds_load_b128 v[32:35], v40 offset:3200
	;; [unrolled: 1-line block ×12, first 2 shown]
	s_or_b32 exec_lo, exec_lo, s1
	s_and_b32 s0, vcc_lo, s0
	s_delay_alu instid0(SALU_CYCLE_1)
	s_and_saveexec_b32 s1, s0
	s_cbranch_execz .LBB0_13
.LBB0_15:
	v_mul_u32_u24_e32 v53, 12, v52
	s_mov_b32 s16, 0x24c2f84
	s_mov_b32 s17, 0xbfe5384d
	;; [unrolled: 1-line block ×4, first 2 shown]
	v_lshlrev_b32_e32 v53, 4, v53
	s_mov_b32 s2, 0x2ef20147
	s_mov_b32 s26, 0x42a4c3d2
	;; [unrolled: 1-line block ×4, first 2 shown]
	s_clause 0x1
	global_load_b128 v[58:61], v53, s[4:5] offset:1504
	global_load_b128 v[66:69], v53, s[4:5] offset:1520
	s_mov_b32 s3, 0xbfedeba7
	s_mov_b32 s27, 0x3fea55e2
	;; [unrolled: 1-line block ×19, first 2 shown]
	s_waitcnt vmcnt(1) lgkmcnt(7)
	v_mul_f64 v[56:57], v[46:47], v[60:61]
	s_delay_alu instid0(VALU_DEP_1) | instskip(SKIP_1) | instid1(VALU_DEP_1)
	v_fma_f64 v[56:57], v[44:45], v[58:59], v[56:57]
	v_mul_f64 v[44:45], v[44:45], v[60:61]
	v_fma_f64 v[44:45], v[46:47], v[58:59], -v[44:45]
	s_clause 0x1
	global_load_b128 v[58:61], v53, s[4:5] offset:1456
	global_load_b128 v[70:73], v53, s[4:5] offset:1440
	s_waitcnt vmcnt(1)
	v_mul_f64 v[46:47], v[34:35], v[60:61]
	s_delay_alu instid0(VALU_DEP_1)
	v_fma_f64 v[46:47], v[32:33], v[58:59], v[46:47]
	v_mul_f64 v[32:33], v[32:33], v[60:61]
	s_clause 0x1
	global_load_b128 v[60:63], v53, s[4:5] offset:1600
	global_load_b128 v[74:77], v53, s[4:5] offset:1616
	v_fma_f64 v[58:59], v[34:35], v[58:59], -v[32:33]
	s_waitcnt vmcnt(1) lgkmcnt(1)
	v_mul_f64 v[32:33], v[50:51], v[62:63]
	v_mul_f64 v[34:35], v[48:49], v[62:63]
	s_delay_alu instid0(VALU_DEP_2) | instskip(SKIP_1) | instid1(VALU_DEP_3)
	v_fma_f64 v[32:33], v[48:49], v[60:61], v[32:33]
	v_mul_f64 v[48:49], v[6:7], v[72:73]
	v_fma_f64 v[34:35], v[50:51], v[60:61], -v[34:35]
	s_delay_alu instid0(VALU_DEP_2) | instskip(SKIP_4) | instid1(VALU_DEP_1)
	v_fma_f64 v[64:65], v[4:5], v[70:71], v[48:49]
	s_clause 0x1
	global_load_b128 v[48:51], v53, s[4:5] offset:1552
	global_load_b128 v[60:63], v53, s[4:5] offset:1536
	v_mul_f64 v[4:5], v[4:5], v[72:73]
	v_fma_f64 v[82:83], v[6:7], v[70:71], -v[4:5]
	s_waitcnt vmcnt(2) lgkmcnt(0)
	v_mul_f64 v[4:5], v[42:43], v[76:77]
	v_mul_f64 v[6:7], v[40:41], v[76:77]
	s_delay_alu instid0(VALU_DEP_2) | instskip(NEXT) | instid1(VALU_DEP_2)
	v_fma_f64 v[4:5], v[40:41], v[74:75], v[4:5]
	v_fma_f64 v[6:7], v[42:43], v[74:75], -v[6:7]
	s_delay_alu instid0(VALU_DEP_2) | instskip(NEXT) | instid1(VALU_DEP_2)
	v_add_f64 v[92:93], v[64:65], -v[4:5]
	v_add_f64 v[108:109], v[82:83], v[6:7]
	v_add_f64 v[132:133], v[64:65], v[4:5]
	;; [unrolled: 1-line block ×3, first 2 shown]
	s_delay_alu instid0(VALU_DEP_4) | instskip(SKIP_3) | instid1(VALU_DEP_4)
	v_mul_f64 v[96:97], v[92:93], s[16:17]
	v_mul_f64 v[94:95], v[92:93], s[18:19]
	;; [unrolled: 1-line block ×4, first 2 shown]
	v_fma_f64 v[112:113], v[108:109], s[10:11], v[96:97]
	v_fma_f64 v[96:97], v[108:109], s[10:11], -v[96:97]
	v_fma_f64 v[110:111], v[108:109], s[12:13], v[94:95]
	v_fma_f64 v[114:115], v[108:109], s[6:7], v[98:99]
	v_fma_f64 v[94:95], v[108:109], s[12:13], -v[94:95]
	v_fma_f64 v[98:99], v[108:109], s[6:7], -v[98:99]
	v_fma_f64 v[118:119], v[108:109], s[14:15], v[106:107]
	v_fma_f64 v[120:121], v[108:109], s[14:15], -v[106:107]
	v_add_f64 v[152:153], v[2:3], v[112:113]
	v_add_f64 v[154:155], v[2:3], v[96:97]
	;; [unrolled: 1-line block ×7, first 2 shown]
	s_waitcnt vmcnt(1)
	v_mul_f64 v[40:41], v[30:31], v[50:51]
	s_delay_alu instid0(VALU_DEP_1) | instskip(SKIP_1) | instid1(VALU_DEP_1)
	v_fma_f64 v[40:41], v[28:29], v[48:49], v[40:41]
	v_mul_f64 v[28:29], v[28:29], v[50:51]
	v_fma_f64 v[28:29], v[30:31], v[48:49], -v[28:29]
	s_clause 0x1
	global_load_b128 v[48:51], v53, s[4:5] offset:1472
	global_load_b128 v[70:73], v53, s[4:5] offset:1488
	s_waitcnt vmcnt(1)
	v_mul_f64 v[30:31], v[10:11], v[50:51]
	s_delay_alu instid0(VALU_DEP_1) | instskip(SKIP_1) | instid1(VALU_DEP_1)
	v_fma_f64 v[30:31], v[8:9], v[48:49], v[30:31]
	v_mul_f64 v[8:9], v[8:9], v[50:51]
	v_fma_f64 v[42:43], v[10:11], v[48:49], -v[8:9]
	s_clause 0x1
	global_load_b128 v[48:51], v53, s[4:5] offset:1584
	global_load_b128 v[74:77], v53, s[4:5] offset:1568
	s_mov_b32 s4, 0x66966769
	s_mov_b32 s5, 0x3fefc445
	;; [unrolled: 1-line block ×3, first 2 shown]
	v_mov_b32_e32 v53, 0
	v_mul_f64 v[100:101], v[92:93], s[20:21]
	s_delay_alu instid0(VALU_DEP_1) | instskip(SKIP_1) | instid1(VALU_DEP_1)
	v_fma_f64 v[116:117], v[108:109], s[0:1], v[100:101]
	v_fma_f64 v[100:101], v[108:109], s[0:1], -v[100:101]
	v_add_f64 v[112:113], v[2:3], v[100:101]
	v_add_f64 v[100:101], v[2:3], v[118:119]
	s_waitcnt vmcnt(1)
	v_mul_f64 v[8:9], v[38:39], v[50:51]
	v_mul_f64 v[10:11], v[36:37], v[50:51]
	s_delay_alu instid0(VALU_DEP_2) | instskip(SKIP_1) | instid1(VALU_DEP_3)
	v_fma_f64 v[8:9], v[36:37], v[48:49], v[8:9]
	v_mul_f64 v[36:37], v[14:15], v[72:73]
	v_fma_f64 v[10:11], v[38:39], v[48:49], -v[10:11]
	v_add_f64 v[48:49], v[56:57], -v[40:41]
	s_delay_alu instid0(VALU_DEP_3) | instskip(SKIP_2) | instid1(VALU_DEP_4)
	v_fma_f64 v[36:37], v[12:13], v[70:71], v[36:37]
	v_mul_f64 v[12:13], v[12:13], v[72:73]
	v_add_f64 v[72:73], v[46:47], -v[32:33]
	v_mul_f64 v[90:91], v[48:49], s[28:29]
	s_delay_alu instid0(VALU_DEP_3)
	v_fma_f64 v[38:39], v[14:15], v[70:71], -v[12:13]
	s_waitcnt vmcnt(0)
	v_mul_f64 v[12:13], v[26:27], v[76:77]
	v_mul_f64 v[14:15], v[24:25], v[76:77]
	v_add_f64 v[70:71], v[58:59], -v[34:35]
	v_mul_f64 v[102:103], v[72:73], s[28:29]
	s_delay_alu instid0(VALU_DEP_4)
	v_fma_f64 v[12:13], v[24:25], v[74:75], v[12:13]
	v_mul_f64 v[24:25], v[18:19], v[68:69]
	v_fma_f64 v[14:15], v[26:27], v[74:75], -v[14:15]
	v_mul_f64 v[104:105], v[70:71], s[28:29]
	v_fma_f64 v[114:115], v[96:97], s[24:25], v[102:103]
	v_fma_f64 v[102:103], v[96:97], s[24:25], -v[102:103]
	v_fma_f64 v[24:25], v[16:17], v[66:67], v[24:25]
	v_mul_f64 v[16:17], v[16:17], v[68:69]
	v_add_f64 v[68:69], v[30:31], -v[8:9]
	v_add_f64 v[118:119], v[114:115], v[146:147]
	v_add_f64 v[114:115], v[46:47], v[32:33]
	;; [unrolled: 1-line block ×4, first 2 shown]
	v_fma_f64 v[18:19], v[18:19], v[66:67], -v[16:17]
	v_mul_f64 v[16:17], v[22:23], v[62:63]
	v_add_f64 v[66:67], v[42:43], -v[10:11]
	v_mul_f64 v[86:87], v[68:69], s[28:29]
	s_delay_alu instid0(VALU_DEP_3) | instskip(SKIP_3) | instid1(VALU_DEP_4)
	v_fma_f64 v[16:17], v[20:21], v[60:61], v[16:17]
	v_mul_f64 v[20:21], v[20:21], v[62:63]
	v_add_f64 v[62:63], v[36:37], -v[12:13]
	v_mul_f64 v[84:85], v[66:67], s[28:29]
	v_add_f64 v[26:27], v[24:25], -v[16:17]
	s_delay_alu instid0(VALU_DEP_4)
	v_fma_f64 v[20:21], v[22:23], v[60:61], -v[20:21]
	v_add_f64 v[22:23], v[44:45], -v[28:29]
	v_add_f64 v[60:61], v[38:39], -v[14:15]
	v_mul_f64 v[80:81], v[62:63], s[28:29]
	v_add_f64 v[174:175], v[24:25], v[16:17]
	v_mul_f64 v[74:75], v[26:27], s[28:29]
	v_add_f64 v[50:51], v[18:19], -v[20:21]
	v_mul_f64 v[88:89], v[22:23], s[28:29]
	v_mul_f64 v[78:79], v[60:61], s[28:29]
	;; [unrolled: 1-line block ×3, first 2 shown]
	v_add_f64 v[170:171], v[18:19], v[20:21]
	v_mul_f64 v[172:173], v[26:27], s[4:5]
	v_mul_f64 v[76:77], v[50:51], s[28:29]
	s_mov_b32 s29, 0xbfddbe06
	v_mul_f64 v[176:177], v[50:51], s[4:5]
	v_mul_f64 v[92:93], v[92:93], s[28:29]
	s_delay_alu instid0(VALU_DEP_1) | instskip(SKIP_3) | instid1(VALU_DEP_4)
	v_fma_f64 v[122:123], v[108:109], s[24:25], v[92:93]
	v_fma_f64 v[124:125], v[108:109], s[24:25], -v[92:93]
	v_add_f64 v[92:93], v[82:83], -v[6:7]
	v_add_f64 v[82:83], v[2:3], v[82:83]
	v_add_f64 v[94:95], v[2:3], v[122:123]
	v_mul_f64 v[122:123], v[68:69], s[16:17]
	s_delay_alu instid0(VALU_DEP_4)
	v_mul_f64 v[106:107], v[92:93], s[18:19]
	v_mul_f64 v[108:109], v[92:93], s[16:17]
	;; [unrolled: 1-line block ×6, first 2 shown]
	s_mov_b32 s29, 0x3fcea1e5
	s_mov_b32 s28, s18
	v_fma_f64 v[134:135], v[132:133], s[12:13], -v[106:107]
	v_fma_f64 v[136:137], v[132:133], s[10:11], -v[108:109]
	v_fma_f64 v[108:109], v[132:133], s[10:11], v[108:109]
	v_fma_f64 v[106:107], v[132:133], s[12:13], v[106:107]
	v_fma_f64 v[140:141], v[132:133], s[0:1], -v[128:129]
	v_fma_f64 v[138:139], v[132:133], s[6:7], -v[126:127]
	v_fma_f64 v[126:127], v[132:133], s[6:7], v[126:127]
	v_fma_f64 v[142:143], v[132:133], s[14:15], -v[130:131]
	v_fma_f64 v[128:129], v[132:133], s[0:1], v[128:129]
	;; [unrolled: 2-line block ×3, first 2 shown]
	v_fma_f64 v[132:133], v[132:133], s[24:25], v[92:93]
	v_add_f64 v[134:135], v[0:1], v[134:135]
	v_add_f64 v[136:137], v[0:1], v[136:137]
	;; [unrolled: 1-line block ×4, first 2 shown]
	v_fma_f64 v[116:117], v[114:115], s[24:25], -v[104:105]
	v_add_f64 v[150:151], v[0:1], v[106:107]
	v_add_f64 v[106:107], v[0:1], v[140:141]
	;; [unrolled: 1-line block ×10, first 2 shown]
	v_fma_f64 v[104:105], v[114:115], s[24:25], v[104:105]
	v_add_f64 v[138:139], v[0:1], v[138:139]
	v_add_f64 v[130:131], v[0:1], v[130:131]
	;; [unrolled: 1-line block ×7, first 2 shown]
	s_delay_alu instid0(VALU_DEP_3) | instskip(SKIP_1) | instid1(VALU_DEP_2)
	v_fma_f64 v[124:125], v[116:117], s[10:11], v[122:123]
	v_fma_f64 v[122:123], v[116:117], s[10:11], -v[122:123]
	v_add_f64 v[118:119], v[124:125], v[118:119]
	v_mul_f64 v[124:125], v[66:67], s[16:17]
	s_delay_alu instid0(VALU_DEP_3) | instskip(NEXT) | instid1(VALU_DEP_2)
	v_add_f64 v[102:103], v[122:123], v[102:103]
	v_fma_f64 v[126:127], v[134:135], s[10:11], -v[124:125]
	v_fma_f64 v[122:123], v[134:135], s[10:11], v[124:125]
	v_fma_f64 v[124:125], v[174:175], s[0:1], v[176:177]
	s_delay_alu instid0(VALU_DEP_3) | instskip(SKIP_1) | instid1(VALU_DEP_4)
	v_add_f64 v[120:121], v[126:127], v[120:121]
	v_mul_f64 v[126:127], v[62:63], s[26:27]
	v_add_f64 v[104:105], v[122:123], v[104:105]
	s_delay_alu instid0(VALU_DEP_2) | instskip(SKIP_2) | instid1(VALU_DEP_3)
	v_fma_f64 v[128:129], v[142:143], s[14:15], v[126:127]
	v_fma_f64 v[122:123], v[142:143], s[14:15], -v[126:127]
	v_mul_f64 v[126:127], v[72:73], s[4:5]
	v_add_f64 v[118:119], v[128:129], v[118:119]
	v_mul_f64 v[128:129], v[60:61], s[26:27]
	s_delay_alu instid0(VALU_DEP_4) | instskip(NEXT) | instid1(VALU_DEP_2)
	v_add_f64 v[102:103], v[122:123], v[102:103]
	v_fma_f64 v[132:133], v[144:145], s[14:15], -v[128:129]
	v_fma_f64 v[122:123], v[144:145], s[14:15], v[128:129]
	v_mul_f64 v[128:129], v[70:71], s[4:5]
	s_delay_alu instid0(VALU_DEP_3) | instskip(SKIP_1) | instid1(VALU_DEP_4)
	v_add_f64 v[120:121], v[132:133], v[120:121]
	v_mul_f64 v[132:133], v[48:49], s[2:3]
	v_add_f64 v[104:105], v[122:123], v[104:105]
	s_delay_alu instid0(VALU_DEP_2) | instskip(SKIP_2) | instid1(VALU_DEP_3)
	v_fma_f64 v[164:165], v[146:147], s[6:7], v[132:133]
	v_fma_f64 v[122:123], v[146:147], s[6:7], -v[132:133]
	v_mul_f64 v[132:133], v[68:69], s[22:23]
	v_add_f64 v[118:119], v[164:165], v[118:119]
	v_add_f64 v[164:165], v[56:57], v[40:41]
	s_delay_alu instid0(VALU_DEP_4) | instskip(NEXT) | instid1(VALU_DEP_2)
	v_add_f64 v[102:103], v[122:123], v[102:103]
	v_fma_f64 v[122:123], v[164:165], s[6:7], v[166:167]
	v_fma_f64 v[168:169], v[164:165], s[6:7], -v[166:167]
	v_mul_f64 v[166:167], v[26:27], s[2:3]
	s_delay_alu instid0(VALU_DEP_3) | instskip(SKIP_1) | instid1(VALU_DEP_4)
	v_add_f64 v[122:123], v[122:123], v[104:105]
	v_fma_f64 v[104:105], v[170:171], s[0:1], -v[172:173]
	v_add_f64 v[168:169], v[168:169], v[120:121]
	v_fma_f64 v[120:121], v[170:171], s[0:1], v[172:173]
	s_delay_alu instid0(VALU_DEP_3)
	v_add_f64 v[104:105], v[104:105], v[102:103]
	v_add_f64 v[102:103], v[124:125], v[122:123]
	v_fma_f64 v[122:123], v[96:97], s[0:1], v[126:127]
	v_fma_f64 v[124:125], v[114:115], s[0:1], -v[128:129]
	v_fma_f64 v[126:127], v[96:97], s[0:1], -v[126:127]
	v_fma_f64 v[128:129], v[114:115], s[0:1], v[128:129]
	v_add_f64 v[120:121], v[120:121], v[118:119]
	v_fma_f64 v[118:119], v[174:175], s[0:1], -v[176:177]
	v_add_f64 v[122:123], v[122:123], v[152:153]
	v_add_f64 v[124:125], v[124:125], v[136:137]
	v_fma_f64 v[136:137], v[116:117], s[14:15], v[132:133]
	v_add_f64 v[126:127], v[126:127], v[154:155]
	v_fma_f64 v[132:133], v[116:117], s[14:15], -v[132:133]
	v_add_f64 v[128:129], v[128:129], v[156:157]
	v_add_f64 v[118:119], v[118:119], v[168:169]
	v_mul_f64 v[168:169], v[50:51], s[2:3]
	v_mul_f64 v[156:157], v[26:27], s[26:27]
	v_add_f64 v[122:123], v[136:137], v[122:123]
	v_mul_f64 v[136:137], v[66:67], s[22:23]
	v_add_f64 v[126:127], v[132:133], v[126:127]
	s_delay_alu instid0(VALU_DEP_2) | instskip(SKIP_2) | instid1(VALU_DEP_3)
	v_fma_f64 v[148:149], v[134:135], s[14:15], -v[136:137]
	v_fma_f64 v[132:133], v[134:135], s[14:15], v[136:137]
	v_mul_f64 v[136:137], v[70:71], s[30:31]
	v_add_f64 v[124:125], v[148:149], v[124:125]
	v_mul_f64 v[148:149], v[62:63], s[28:29]
	s_delay_alu instid0(VALU_DEP_4) | instskip(NEXT) | instid1(VALU_DEP_2)
	v_add_f64 v[128:129], v[132:133], v[128:129]
	v_fma_f64 v[150:151], v[142:143], s[12:13], v[148:149]
	v_fma_f64 v[132:133], v[142:143], s[12:13], -v[148:149]
	s_delay_alu instid0(VALU_DEP_2) | instskip(SKIP_1) | instid1(VALU_DEP_3)
	v_add_f64 v[122:123], v[150:151], v[122:123]
	v_mul_f64 v[150:151], v[60:61], s[28:29]
	v_add_f64 v[126:127], v[132:133], v[126:127]
	s_delay_alu instid0(VALU_DEP_2) | instskip(SKIP_1) | instid1(VALU_DEP_2)
	v_fma_f64 v[152:153], v[144:145], s[12:13], -v[150:151]
	v_fma_f64 v[132:133], v[144:145], s[12:13], v[150:151]
	v_add_f64 v[124:125], v[152:153], v[124:125]
	v_fma_f64 v[152:153], v[146:147], s[24:25], v[90:91]
	s_delay_alu instid0(VALU_DEP_3) | instskip(SKIP_2) | instid1(VALU_DEP_4)
	v_add_f64 v[128:129], v[132:133], v[128:129]
	v_fma_f64 v[90:91], v[146:147], s[24:25], -v[90:91]
	v_mul_f64 v[132:133], v[72:73], s[30:31]
	v_add_f64 v[122:123], v[152:153], v[122:123]
	v_fma_f64 v[152:153], v[164:165], s[24:25], -v[88:89]
	v_fma_f64 v[88:89], v[164:165], s[24:25], v[88:89]
	v_add_f64 v[90:91], v[90:91], v[126:127]
	v_fma_f64 v[126:127], v[170:171], s[6:7], -v[166:167]
	s_delay_alu instid0(VALU_DEP_4) | instskip(NEXT) | instid1(VALU_DEP_4)
	v_add_f64 v[152:153], v[152:153], v[124:125]
	v_add_f64 v[88:89], v[88:89], v[128:129]
	v_fma_f64 v[128:129], v[174:175], s[6:7], v[168:169]
	s_delay_alu instid0(VALU_DEP_4)
	v_add_f64 v[90:91], v[126:127], v[90:91]
	v_fma_f64 v[126:127], v[96:97], s[10:11], v[132:133]
	v_fma_f64 v[132:133], v[96:97], s[10:11], -v[132:133]
	v_fma_f64 v[124:125], v[170:171], s[6:7], v[166:167]
	v_add_f64 v[88:89], v[128:129], v[88:89]
	v_fma_f64 v[128:129], v[114:115], s[10:11], -v[136:137]
	v_add_f64 v[126:127], v[126:127], v[158:159]
	v_add_f64 v[132:133], v[132:133], v[160:161]
	v_fma_f64 v[136:137], v[114:115], s[10:11], v[136:137]
	v_add_f64 v[124:125], v[124:125], v[122:123]
	v_fma_f64 v[122:123], v[174:175], s[6:7], -v[168:169]
	v_mul_f64 v[158:159], v[50:51], s[26:27]
	v_add_f64 v[128:129], v[128:129], v[138:139]
	v_fma_f64 v[138:139], v[116:117], s[24:25], v[86:87]
	v_fma_f64 v[86:87], v[116:117], s[24:25], -v[86:87]
	v_add_f64 v[136:137], v[136:137], v[162:163]
	v_add_f64 v[122:123], v[122:123], v[152:153]
	s_delay_alu instid0(VALU_DEP_4) | instskip(SKIP_3) | instid1(VALU_DEP_3)
	v_add_f64 v[126:127], v[138:139], v[126:127]
	v_fma_f64 v[138:139], v[134:135], s[24:25], -v[84:85]
	v_add_f64 v[86:87], v[86:87], v[132:133]
	v_fma_f64 v[84:85], v[134:135], s[24:25], v[84:85]
	v_add_f64 v[128:129], v[138:139], v[128:129]
	v_mul_f64 v[138:139], v[62:63], s[20:21]
	s_delay_alu instid0(VALU_DEP_3) | instskip(SKIP_1) | instid1(VALU_DEP_3)
	v_add_f64 v[84:85], v[84:85], v[136:137]
	v_fma_f64 v[136:137], v[174:175], s[14:15], v[158:159]
	v_fma_f64 v[148:149], v[142:143], s[0:1], v[138:139]
	v_fma_f64 v[132:133], v[142:143], s[0:1], -v[138:139]
	v_mul_f64 v[138:139], v[70:71], s[2:3]
	s_delay_alu instid0(VALU_DEP_3) | instskip(SKIP_1) | instid1(VALU_DEP_4)
	v_add_f64 v[126:127], v[148:149], v[126:127]
	v_mul_f64 v[148:149], v[60:61], s[20:21]
	v_add_f64 v[86:87], v[132:133], v[86:87]
	s_delay_alu instid0(VALU_DEP_2) | instskip(SKIP_1) | instid1(VALU_DEP_2)
	v_fma_f64 v[150:151], v[144:145], s[0:1], -v[148:149]
	v_fma_f64 v[132:133], v[144:145], s[0:1], v[148:149]
	v_add_f64 v[128:129], v[150:151], v[128:129]
	v_mul_f64 v[150:151], v[48:49], s[28:29]
	s_delay_alu instid0(VALU_DEP_3) | instskip(NEXT) | instid1(VALU_DEP_2)
	v_add_f64 v[84:85], v[132:133], v[84:85]
	v_fma_f64 v[152:153], v[146:147], s[12:13], v[150:151]
	v_fma_f64 v[132:133], v[146:147], s[12:13], -v[150:151]
	s_delay_alu instid0(VALU_DEP_2) | instskip(SKIP_1) | instid1(VALU_DEP_3)
	v_add_f64 v[126:127], v[152:153], v[126:127]
	v_mul_f64 v[152:153], v[22:23], s[28:29]
	v_add_f64 v[86:87], v[132:133], v[86:87]
	s_delay_alu instid0(VALU_DEP_2) | instskip(SKIP_1) | instid1(VALU_DEP_2)
	v_fma_f64 v[132:133], v[164:165], s[12:13], v[152:153]
	v_fma_f64 v[154:155], v[164:165], s[12:13], -v[152:153]
	v_add_f64 v[84:85], v[132:133], v[84:85]
	v_fma_f64 v[132:133], v[170:171], s[14:15], -v[156:157]
	s_delay_alu instid0(VALU_DEP_3) | instskip(SKIP_1) | instid1(VALU_DEP_4)
	v_add_f64 v[154:155], v[154:155], v[128:129]
	v_fma_f64 v[128:129], v[170:171], s[14:15], v[156:157]
	v_add_f64 v[84:85], v[136:137], v[84:85]
	v_mul_f64 v[136:137], v[72:73], s[2:3]
	v_add_f64 v[86:87], v[132:133], v[86:87]
	s_delay_alu instid0(VALU_DEP_4) | instskip(SKIP_1) | instid1(VALU_DEP_4)
	v_add_f64 v[128:129], v[128:129], v[126:127]
	v_fma_f64 v[126:127], v[174:175], s[14:15], -v[158:159]
	v_fma_f64 v[132:133], v[96:97], s[6:7], -v[136:137]
	s_delay_alu instid0(VALU_DEP_2) | instskip(NEXT) | instid1(VALU_DEP_2)
	v_add_f64 v[126:127], v[126:127], v[154:155]
	v_add_f64 v[132:133], v[132:133], v[140:141]
	v_fma_f64 v[140:141], v[114:115], s[6:7], v[138:139]
	s_delay_alu instid0(VALU_DEP_1) | instskip(SKIP_1) | instid1(VALU_DEP_1)
	v_add_f64 v[130:131], v[140:141], v[130:131]
	v_mul_f64 v[140:141], v[68:69], s[18:19]
	v_fma_f64 v[148:149], v[116:117], s[12:13], -v[140:141]
	s_delay_alu instid0(VALU_DEP_1) | instskip(SKIP_1) | instid1(VALU_DEP_1)
	v_add_f64 v[132:133], v[148:149], v[132:133]
	v_mul_f64 v[148:149], v[66:67], s[18:19]
	v_fma_f64 v[150:151], v[134:135], s[12:13], v[148:149]
	s_delay_alu instid0(VALU_DEP_1) | instskip(SKIP_2) | instid1(VALU_DEP_2)
	v_add_f64 v[130:131], v[150:151], v[130:131]
	v_mul_f64 v[150:151], v[62:63], s[30:31]
	v_mul_f64 v[62:63], v[62:63], s[2:3]
	v_fma_f64 v[152:153], v[142:143], s[10:11], -v[150:151]
	s_delay_alu instid0(VALU_DEP_1) | instskip(SKIP_2) | instid1(VALU_DEP_2)
	v_add_f64 v[132:133], v[152:153], v[132:133]
	v_mul_f64 v[152:153], v[60:61], s[30:31]
	v_mul_f64 v[60:61], v[60:61], s[2:3]
	v_fma_f64 v[154:155], v[144:145], s[10:11], v[152:153]
	s_delay_alu instid0(VALU_DEP_1) | instskip(SKIP_1) | instid1(VALU_DEP_1)
	v_add_f64 v[130:131], v[154:155], v[130:131]
	v_mul_f64 v[154:155], v[48:49], s[4:5]
	v_fma_f64 v[156:157], v[146:147], s[0:1], -v[154:155]
	s_delay_alu instid0(VALU_DEP_1) | instskip(SKIP_3) | instid1(VALU_DEP_1)
	v_add_f64 v[132:133], v[156:157], v[132:133]
	v_mul_f64 v[156:157], v[22:23], s[4:5]
	s_mov_b32 s5, 0x3fedeba7
	s_mov_b32 s4, s2
	v_fma_f64 v[158:159], v[164:165], s[0:1], v[156:157]
	s_delay_alu instid0(VALU_DEP_1) | instskip(SKIP_2) | instid1(VALU_DEP_2)
	v_add_f64 v[130:131], v[158:159], v[130:131]
	v_fma_f64 v[158:159], v[170:171], s[24:25], -v[74:75]
	v_fma_f64 v[74:75], v[170:171], s[24:25], v[74:75]
	v_add_f64 v[132:133], v[158:159], v[132:133]
	v_fma_f64 v[158:159], v[174:175], s[24:25], v[76:77]
	s_delay_alu instid0(VALU_DEP_1) | instskip(SKIP_2) | instid1(VALU_DEP_2)
	v_add_f64 v[130:131], v[158:159], v[130:131]
	v_mul_f64 v[158:159], v[72:73], s[18:19]
	v_mul_f64 v[72:73], v[72:73], s[22:23]
	v_fma_f64 v[160:161], v[96:97], s[12:13], -v[158:159]
	v_fma_f64 v[158:159], v[96:97], s[12:13], v[158:159]
	s_delay_alu instid0(VALU_DEP_2) | instskip(SKIP_1) | instid1(VALU_DEP_3)
	v_add_f64 v[112:113], v[160:161], v[112:113]
	v_mul_f64 v[160:161], v[70:71], s[18:19]
	v_add_f64 v[108:109], v[158:159], v[108:109]
	v_mul_f64 v[70:71], v[70:71], s[22:23]
	s_delay_alu instid0(VALU_DEP_3) | instskip(SKIP_1) | instid1(VALU_DEP_2)
	v_fma_f64 v[162:163], v[114:115], s[12:13], v[160:161]
	v_fma_f64 v[158:159], v[114:115], s[12:13], -v[160:161]
	v_add_f64 v[110:111], v[162:163], v[110:111]
	v_mul_f64 v[162:163], v[68:69], s[4:5]
	s_delay_alu instid0(VALU_DEP_3) | instskip(SKIP_1) | instid1(VALU_DEP_3)
	v_add_f64 v[106:107], v[158:159], v[106:107]
	v_mul_f64 v[68:69], v[68:69], s[20:21]
	v_fma_f64 v[166:167], v[116:117], s[6:7], -v[162:163]
	v_fma_f64 v[158:159], v[116:117], s[6:7], v[162:163]
	s_delay_alu instid0(VALU_DEP_2) | instskip(SKIP_1) | instid1(VALU_DEP_3)
	v_add_f64 v[112:113], v[166:167], v[112:113]
	v_mul_f64 v[166:167], v[66:67], s[4:5]
	v_add_f64 v[108:109], v[158:159], v[108:109]
	v_mul_f64 v[66:67], v[66:67], s[20:21]
	s_delay_alu instid0(VALU_DEP_3) | instskip(SKIP_1) | instid1(VALU_DEP_2)
	v_fma_f64 v[168:169], v[134:135], s[6:7], v[166:167]
	v_fma_f64 v[158:159], v[134:135], s[6:7], -v[166:167]
	v_add_f64 v[110:111], v[168:169], v[110:111]
	v_fma_f64 v[168:169], v[142:143], s[24:25], -v[80:81]
	s_delay_alu instid0(VALU_DEP_3) | instskip(SKIP_1) | instid1(VALU_DEP_3)
	v_add_f64 v[106:107], v[158:159], v[106:107]
	v_fma_f64 v[80:81], v[142:143], s[24:25], v[80:81]
	v_add_f64 v[112:113], v[168:169], v[112:113]
	v_fma_f64 v[168:169], v[144:145], s[24:25], v[78:79]
	v_fma_f64 v[78:79], v[144:145], s[24:25], -v[78:79]
	s_delay_alu instid0(VALU_DEP_4) | instskip(NEXT) | instid1(VALU_DEP_3)
	v_add_f64 v[80:81], v[80:81], v[108:109]
	v_add_f64 v[110:111], v[168:169], v[110:111]
	v_mul_f64 v[168:169], v[48:49], s[22:23]
	s_delay_alu instid0(VALU_DEP_4) | instskip(NEXT) | instid1(VALU_DEP_2)
	v_add_f64 v[78:79], v[78:79], v[106:107]
	v_fma_f64 v[172:173], v[146:147], s[14:15], -v[168:169]
	v_fma_f64 v[106:107], v[146:147], s[14:15], v[168:169]
	s_delay_alu instid0(VALU_DEP_2) | instskip(SKIP_1) | instid1(VALU_DEP_3)
	v_add_f64 v[112:113], v[172:173], v[112:113]
	v_mul_f64 v[172:173], v[22:23], s[22:23]
	v_add_f64 v[80:81], v[106:107], v[80:81]
	v_mul_f64 v[22:23], v[22:23], s[16:17]
	s_delay_alu instid0(VALU_DEP_3) | instskip(SKIP_1) | instid1(VALU_DEP_2)
	v_fma_f64 v[176:177], v[164:165], s[14:15], v[172:173]
	v_fma_f64 v[106:107], v[164:165], s[14:15], -v[172:173]
	v_add_f64 v[110:111], v[176:177], v[110:111]
	v_mul_f64 v[176:177], v[26:27], s[16:17]
	s_delay_alu instid0(VALU_DEP_3) | instskip(SKIP_1) | instid1(VALU_DEP_3)
	v_add_f64 v[78:79], v[106:107], v[78:79]
	v_mul_f64 v[26:27], v[26:27], s[18:19]
	v_fma_f64 v[106:107], v[170:171], s[10:11], v[176:177]
	v_fma_f64 v[178:179], v[170:171], s[10:11], -v[176:177]
	s_delay_alu instid0(VALU_DEP_2) | instskip(SKIP_1) | instid1(VALU_DEP_3)
	v_add_f64 v[80:81], v[106:107], v[80:81]
	v_fma_f64 v[106:107], v[96:97], s[6:7], v[136:137]
	v_add_f64 v[112:113], v[178:179], v[112:113]
	v_mul_f64 v[178:179], v[50:51], s[16:17]
	s_delay_alu instid0(VALU_DEP_3) | instskip(SKIP_1) | instid1(VALU_DEP_3)
	v_add_f64 v[100:101], v[106:107], v[100:101]
	v_fma_f64 v[106:107], v[114:115], s[6:7], -v[138:139]
	v_fma_f64 v[180:181], v[174:175], s[10:11], v[178:179]
	v_fma_f64 v[108:109], v[174:175], s[10:11], -v[178:179]
	s_delay_alu instid0(VALU_DEP_3) | instskip(SKIP_1) | instid1(VALU_DEP_4)
	v_add_f64 v[98:99], v[106:107], v[98:99]
	v_fma_f64 v[106:107], v[116:117], s[12:13], v[140:141]
	v_add_f64 v[110:111], v[180:181], v[110:111]
	s_delay_alu instid0(VALU_DEP_4) | instskip(NEXT) | instid1(VALU_DEP_3)
	v_add_f64 v[78:79], v[108:109], v[78:79]
	v_add_f64 v[100:101], v[106:107], v[100:101]
	v_fma_f64 v[106:107], v[134:135], s[12:13], -v[148:149]
	s_delay_alu instid0(VALU_DEP_1) | instskip(SKIP_1) | instid1(VALU_DEP_1)
	v_add_f64 v[98:99], v[106:107], v[98:99]
	v_fma_f64 v[106:107], v[142:143], s[10:11], v[150:151]
	v_add_f64 v[100:101], v[106:107], v[100:101]
	v_fma_f64 v[106:107], v[144:145], s[10:11], -v[152:153]
	s_delay_alu instid0(VALU_DEP_1) | instskip(SKIP_1) | instid1(VALU_DEP_1)
	v_add_f64 v[98:99], v[106:107], v[98:99]
	v_fma_f64 v[106:107], v[146:147], s[0:1], v[154:155]
	v_add_f64 v[100:101], v[106:107], v[100:101]
	v_fma_f64 v[106:107], v[164:165], s[0:1], -v[156:157]
	s_delay_alu instid0(VALU_DEP_1) | instskip(SKIP_1) | instid1(VALU_DEP_4)
	v_add_f64 v[98:99], v[106:107], v[98:99]
	v_fma_f64 v[106:107], v[174:175], s[24:25], -v[76:77]
	v_add_f64 v[76:77], v[74:75], v[100:101]
	s_delay_alu instid0(VALU_DEP_2) | instskip(SKIP_2) | instid1(VALU_DEP_2)
	v_add_f64 v[74:75], v[106:107], v[98:99]
	v_fma_f64 v[98:99], v[96:97], s[14:15], v[72:73]
	v_fma_f64 v[72:73], v[96:97], s[14:15], -v[72:73]
	v_add_f64 v[94:95], v[98:99], v[94:95]
	v_fma_f64 v[98:99], v[114:115], s[14:15], -v[70:71]
	v_fma_f64 v[70:71], v[114:115], s[14:15], v[70:71]
	s_delay_alu instid0(VALU_DEP_4) | instskip(NEXT) | instid1(VALU_DEP_3)
	v_add_f64 v[2:3], v[72:73], v[2:3]
	v_add_f64 v[92:93], v[98:99], v[92:93]
	v_fma_f64 v[98:99], v[116:117], s[0:1], v[68:69]
	v_fma_f64 v[68:69], v[116:117], s[0:1], -v[68:69]
	v_add_f64 v[0:1], v[70:71], v[0:1]
	s_delay_alu instid0(VALU_DEP_3) | instskip(SKIP_3) | instid1(VALU_DEP_3)
	v_add_f64 v[94:95], v[98:99], v[94:95]
	v_fma_f64 v[98:99], v[134:135], s[0:1], -v[66:67]
	v_fma_f64 v[66:67], v[134:135], s[0:1], v[66:67]
	v_add_f64 v[2:3], v[68:69], v[2:3]
	v_add_f64 v[92:93], v[98:99], v[92:93]
	v_fma_f64 v[98:99], v[142:143], s[6:7], v[62:63]
	v_fma_f64 v[62:63], v[142:143], s[6:7], -v[62:63]
	v_add_f64 v[0:1], v[66:67], v[0:1]
	s_delay_alu instid0(VALU_DEP_3) | instskip(SKIP_3) | instid1(VALU_DEP_3)
	v_add_f64 v[94:95], v[98:99], v[94:95]
	v_fma_f64 v[98:99], v[144:145], s[6:7], -v[60:61]
	v_fma_f64 v[60:61], v[144:145], s[6:7], v[60:61]
	v_add_f64 v[2:3], v[62:63], v[2:3]
	v_add_f64 v[92:93], v[98:99], v[92:93]
	v_mul_f64 v[98:99], v[48:49], s[16:17]
	s_delay_alu instid0(VALU_DEP_4) | instskip(NEXT) | instid1(VALU_DEP_2)
	v_add_f64 v[0:1], v[60:61], v[0:1]
	v_fma_f64 v[48:49], v[146:147], s[10:11], v[98:99]
	v_fma_f64 v[66:67], v[146:147], s[10:11], -v[98:99]
	s_delay_alu instid0(VALU_DEP_2) | instskip(SKIP_2) | instid1(VALU_DEP_4)
	v_add_f64 v[48:49], v[48:49], v[94:95]
	v_fma_f64 v[94:95], v[164:165], s[10:11], -v[22:23]
	v_fma_f64 v[22:23], v[164:165], s[10:11], v[22:23]
	v_add_f64 v[2:3], v[66:67], v[2:3]
	s_delay_alu instid0(VALU_DEP_3)
	v_add_f64 v[92:93], v[94:95], v[92:93]
	v_mul_f64 v[94:95], v[50:51], s[18:19]
	v_fma_f64 v[50:51], v[170:171], s[12:13], v[26:27]
	v_fma_f64 v[26:27], v[170:171], s[12:13], -v[26:27]
	v_add_f64 v[0:1], v[22:23], v[0:1]
	v_add_f64 v[22:23], v[58:59], v[82:83]
	v_fma_f64 v[60:61], v[174:175], s[12:13], v[94:95]
	v_add_f64 v[50:51], v[50:51], v[48:49]
	v_add_f64 v[2:3], v[26:27], v[2:3]
	;; [unrolled: 1-line block ×4, first 2 shown]
	v_fma_f64 v[48:49], v[174:175], s[12:13], -v[94:95]
	v_add_f64 v[0:1], v[60:61], v[0:1]
	s_delay_alu instid0(VALU_DEP_4) | instskip(NEXT) | instid1(VALU_DEP_4)
	v_add_f64 v[26:27], v[30:31], v[26:27]
	v_add_f64 v[22:23], v[38:39], v[22:23]
	s_delay_alu instid0(VALU_DEP_4) | instskip(NEXT) | instid1(VALU_DEP_3)
	v_add_f64 v[48:49], v[48:49], v[92:93]
	v_add_f64 v[26:27], v[36:37], v[26:27]
	s_delay_alu instid0(VALU_DEP_3) | instskip(NEXT) | instid1(VALU_DEP_2)
	v_add_f64 v[22:23], v[44:45], v[22:23]
	v_add_f64 v[26:27], v[56:57], v[26:27]
	s_delay_alu instid0(VALU_DEP_2) | instskip(NEXT) | instid1(VALU_DEP_2)
	v_add_f64 v[18:19], v[18:19], v[22:23]
	v_add_f64 v[22:23], v[24:25], v[26:27]
	s_delay_alu instid0(VALU_DEP_2) | instskip(NEXT) | instid1(VALU_DEP_2)
	;; [unrolled: 3-line block ×6, first 2 shown]
	v_add_f64 v[10:11], v[34:35], v[10:11]
	v_add_f64 v[8:9], v[32:33], v[8:9]
	s_delay_alu instid0(VALU_DEP_2) | instskip(SKIP_2) | instid1(VALU_DEP_4)
	v_add_f64 v[6:7], v[6:7], v[10:11]
	v_add_co_u32 v10, vcc_lo, s8, v54
	v_add_co_ci_u32_e32 v11, vcc_lo, s9, v55, vcc_lo
	v_add_f64 v[4:5], v[4:5], v[8:9]
	v_lshlrev_b64 v[8:9], 4, v[52:53]
	s_delay_alu instid0(VALU_DEP_1) | instskip(NEXT) | instid1(VALU_DEP_2)
	v_add_co_u32 v8, vcc_lo, v10, v8
	v_add_co_ci_u32_e32 v9, vcc_lo, v11, v9, vcc_lo
	s_delay_alu instid0(VALU_DEP_2) | instskip(NEXT) | instid1(VALU_DEP_2)
	v_add_co_u32 v10, vcc_lo, 0x1000, v8
	v_add_co_ci_u32_e32 v11, vcc_lo, 0, v9, vcc_lo
	s_clause 0x3
	global_store_b128 v[8:9], v[130:133], off offset:3200
	global_store_b128 v[10:11], v[110:113], off offset:704
	;; [unrolled: 1-line block ×4, first 2 shown]
	v_add_co_u32 v10, vcc_lo, 0x2000, v8
	v_add_co_ci_u32_e32 v11, vcc_lo, 0, v9, vcc_lo
	v_add_co_u32 v12, vcc_lo, 0x3000, v8
	v_add_co_ci_u32_e32 v13, vcc_lo, 0, v9, vcc_lo
	;; [unrolled: 2-line block ×3, first 2 shown]
	s_clause 0x8
	global_store_b128 v[10:11], v[102:105], off offset:1408
	global_store_b128 v[10:11], v[118:121], off offset:3008
	;; [unrolled: 1-line block ×7, first 2 shown]
	global_store_b128 v[8:9], v[4:7], off
	global_store_b128 v[14:15], v[48:51], off offset:2816
	s_nop 0
	s_sendmsg sendmsg(MSG_DEALLOC_VGPRS)
	s_endpgm
	.section	.rodata,"a",@progbits
	.p2align	6, 0x0
	.amdhsa_kernel fft_rtc_back_len1300_factors_10_10_13_wgs_130_tpt_130_dp_ip_CI_unitstride_sbrr_dirReg
		.amdhsa_group_segment_fixed_size 0
		.amdhsa_private_segment_fixed_size 0
		.amdhsa_kernarg_size 88
		.amdhsa_user_sgpr_count 15
		.amdhsa_user_sgpr_dispatch_ptr 0
		.amdhsa_user_sgpr_queue_ptr 0
		.amdhsa_user_sgpr_kernarg_segment_ptr 1
		.amdhsa_user_sgpr_dispatch_id 0
		.amdhsa_user_sgpr_private_segment_size 0
		.amdhsa_wavefront_size32 1
		.amdhsa_uses_dynamic_stack 0
		.amdhsa_enable_private_segment 0
		.amdhsa_system_sgpr_workgroup_id_x 1
		.amdhsa_system_sgpr_workgroup_id_y 0
		.amdhsa_system_sgpr_workgroup_id_z 0
		.amdhsa_system_sgpr_workgroup_info 0
		.amdhsa_system_vgpr_workitem_id 0
		.amdhsa_next_free_vgpr 182
		.amdhsa_next_free_sgpr 32
		.amdhsa_reserve_vcc 1
		.amdhsa_float_round_mode_32 0
		.amdhsa_float_round_mode_16_64 0
		.amdhsa_float_denorm_mode_32 3
		.amdhsa_float_denorm_mode_16_64 3
		.amdhsa_dx10_clamp 1
		.amdhsa_ieee_mode 1
		.amdhsa_fp16_overflow 0
		.amdhsa_workgroup_processor_mode 1
		.amdhsa_memory_ordered 1
		.amdhsa_forward_progress 0
		.amdhsa_shared_vgpr_count 0
		.amdhsa_exception_fp_ieee_invalid_op 0
		.amdhsa_exception_fp_denorm_src 0
		.amdhsa_exception_fp_ieee_div_zero 0
		.amdhsa_exception_fp_ieee_overflow 0
		.amdhsa_exception_fp_ieee_underflow 0
		.amdhsa_exception_fp_ieee_inexact 0
		.amdhsa_exception_int_div_zero 0
	.end_amdhsa_kernel
	.text
.Lfunc_end0:
	.size	fft_rtc_back_len1300_factors_10_10_13_wgs_130_tpt_130_dp_ip_CI_unitstride_sbrr_dirReg, .Lfunc_end0-fft_rtc_back_len1300_factors_10_10_13_wgs_130_tpt_130_dp_ip_CI_unitstride_sbrr_dirReg
                                        ; -- End function
	.section	.AMDGPU.csdata,"",@progbits
; Kernel info:
; codeLenInByte = 9680
; NumSgprs: 34
; NumVgprs: 182
; ScratchSize: 0
; MemoryBound: 1
; FloatMode: 240
; IeeeMode: 1
; LDSByteSize: 0 bytes/workgroup (compile time only)
; SGPRBlocks: 4
; VGPRBlocks: 22
; NumSGPRsForWavesPerEU: 34
; NumVGPRsForWavesPerEU: 182
; Occupancy: 8
; WaveLimiterHint : 1
; COMPUTE_PGM_RSRC2:SCRATCH_EN: 0
; COMPUTE_PGM_RSRC2:USER_SGPR: 15
; COMPUTE_PGM_RSRC2:TRAP_HANDLER: 0
; COMPUTE_PGM_RSRC2:TGID_X_EN: 1
; COMPUTE_PGM_RSRC2:TGID_Y_EN: 0
; COMPUTE_PGM_RSRC2:TGID_Z_EN: 0
; COMPUTE_PGM_RSRC2:TIDIG_COMP_CNT: 0
	.text
	.p2alignl 7, 3214868480
	.fill 96, 4, 3214868480
	.type	__hip_cuid_552ab7566a40c0a8,@object ; @__hip_cuid_552ab7566a40c0a8
	.section	.bss,"aw",@nobits
	.globl	__hip_cuid_552ab7566a40c0a8
__hip_cuid_552ab7566a40c0a8:
	.byte	0                               ; 0x0
	.size	__hip_cuid_552ab7566a40c0a8, 1

	.ident	"AMD clang version 19.0.0git (https://github.com/RadeonOpenCompute/llvm-project roc-6.4.0 25133 c7fe45cf4b819c5991fe208aaa96edf142730f1d)"
	.section	".note.GNU-stack","",@progbits
	.addrsig
	.addrsig_sym __hip_cuid_552ab7566a40c0a8
	.amdgpu_metadata
---
amdhsa.kernels:
  - .args:
      - .actual_access:  read_only
        .address_space:  global
        .offset:         0
        .size:           8
        .value_kind:     global_buffer
      - .offset:         8
        .size:           8
        .value_kind:     by_value
      - .actual_access:  read_only
        .address_space:  global
        .offset:         16
        .size:           8
        .value_kind:     global_buffer
      - .actual_access:  read_only
        .address_space:  global
        .offset:         24
        .size:           8
        .value_kind:     global_buffer
      - .offset:         32
        .size:           8
        .value_kind:     by_value
      - .actual_access:  read_only
        .address_space:  global
        .offset:         40
        .size:           8
        .value_kind:     global_buffer
      - .actual_access:  read_only
        .address_space:  global
        .offset:         48
        .size:           8
        .value_kind:     global_buffer
      - .offset:         56
        .size:           4
        .value_kind:     by_value
      - .actual_access:  read_only
        .address_space:  global
        .offset:         64
        .size:           8
        .value_kind:     global_buffer
      - .actual_access:  read_only
        .address_space:  global
        .offset:         72
        .size:           8
        .value_kind:     global_buffer
      - .address_space:  global
        .offset:         80
        .size:           8
        .value_kind:     global_buffer
    .group_segment_fixed_size: 0
    .kernarg_segment_align: 8
    .kernarg_segment_size: 88
    .language:       OpenCL C
    .language_version:
      - 2
      - 0
    .max_flat_workgroup_size: 130
    .name:           fft_rtc_back_len1300_factors_10_10_13_wgs_130_tpt_130_dp_ip_CI_unitstride_sbrr_dirReg
    .private_segment_fixed_size: 0
    .sgpr_count:     34
    .sgpr_spill_count: 0
    .symbol:         fft_rtc_back_len1300_factors_10_10_13_wgs_130_tpt_130_dp_ip_CI_unitstride_sbrr_dirReg.kd
    .uniform_work_group_size: 1
    .uses_dynamic_stack: false
    .vgpr_count:     182
    .vgpr_spill_count: 0
    .wavefront_size: 32
    .workgroup_processor_mode: 1
amdhsa.target:   amdgcn-amd-amdhsa--gfx1100
amdhsa.version:
  - 1
  - 2
...

	.end_amdgpu_metadata
